;; amdgpu-corpus repo=ROCm/rocFFT kind=compiled arch=gfx906 opt=O3
	.text
	.amdgcn_target "amdgcn-amd-amdhsa--gfx906"
	.amdhsa_code_object_version 6
	.protected	fft_rtc_fwd_len660_factors_11_6_10_wgs_110_tpt_110_halfLds_dp_op_CI_CI_unitstride_sbrr_R2C_dirReg ; -- Begin function fft_rtc_fwd_len660_factors_11_6_10_wgs_110_tpt_110_halfLds_dp_op_CI_CI_unitstride_sbrr_R2C_dirReg
	.globl	fft_rtc_fwd_len660_factors_11_6_10_wgs_110_tpt_110_halfLds_dp_op_CI_CI_unitstride_sbrr_R2C_dirReg
	.p2align	8
	.type	fft_rtc_fwd_len660_factors_11_6_10_wgs_110_tpt_110_halfLds_dp_op_CI_CI_unitstride_sbrr_R2C_dirReg,@function
fft_rtc_fwd_len660_factors_11_6_10_wgs_110_tpt_110_halfLds_dp_op_CI_CI_unitstride_sbrr_R2C_dirReg: ; @fft_rtc_fwd_len660_factors_11_6_10_wgs_110_tpt_110_halfLds_dp_op_CI_CI_unitstride_sbrr_R2C_dirReg
; %bb.0:
	s_load_dwordx4 s[8:11], s[4:5], 0x58
	s_load_dwordx4 s[12:15], s[4:5], 0x0
	;; [unrolled: 1-line block ×3, first 2 shown]
	v_mul_u32_u24_e32 v1, 0x254, v0
	v_add_u32_sdwa v5, s6, v1 dst_sel:DWORD dst_unused:UNUSED_PAD src0_sel:DWORD src1_sel:WORD_1
	v_mov_b32_e32 v3, 0
	s_waitcnt lgkmcnt(0)
	v_cmp_lt_u64_e64 s[0:1], s[14:15], 2
	v_mov_b32_e32 v1, 0
	v_mov_b32_e32 v6, v3
	s_and_b64 vcc, exec, s[0:1]
	v_mov_b32_e32 v2, 0
	s_cbranch_vccnz .LBB0_8
; %bb.1:
	s_load_dwordx2 s[0:1], s[4:5], 0x10
	s_add_u32 s2, s18, 8
	s_addc_u32 s3, s19, 0
	s_add_u32 s6, s16, 8
	v_mov_b32_e32 v1, 0
	s_addc_u32 s7, s17, 0
	v_mov_b32_e32 v2, 0
	s_waitcnt lgkmcnt(0)
	s_add_u32 s20, s0, 8
	v_mov_b32_e32 v61, v2
	s_addc_u32 s21, s1, 0
	s_mov_b64 s[22:23], 1
	v_mov_b32_e32 v60, v1
.LBB0_2:                                ; =>This Inner Loop Header: Depth=1
	s_load_dwordx2 s[24:25], s[20:21], 0x0
                                        ; implicit-def: $vgpr62_vgpr63
	s_waitcnt lgkmcnt(0)
	v_or_b32_e32 v4, s25, v6
	v_cmp_ne_u64_e32 vcc, 0, v[3:4]
	s_and_saveexec_b64 s[0:1], vcc
	s_xor_b64 s[26:27], exec, s[0:1]
	s_cbranch_execz .LBB0_4
; %bb.3:                                ;   in Loop: Header=BB0_2 Depth=1
	v_cvt_f32_u32_e32 v4, s24
	v_cvt_f32_u32_e32 v7, s25
	s_sub_u32 s0, 0, s24
	s_subb_u32 s1, 0, s25
	v_mac_f32_e32 v4, 0x4f800000, v7
	v_rcp_f32_e32 v4, v4
	v_mul_f32_e32 v4, 0x5f7ffffc, v4
	v_mul_f32_e32 v7, 0x2f800000, v4
	v_trunc_f32_e32 v7, v7
	v_mac_f32_e32 v4, 0xcf800000, v7
	v_cvt_u32_f32_e32 v7, v7
	v_cvt_u32_f32_e32 v4, v4
	v_mul_lo_u32 v8, s0, v7
	v_mul_hi_u32 v9, s0, v4
	v_mul_lo_u32 v11, s1, v4
	v_mul_lo_u32 v10, s0, v4
	v_add_u32_e32 v8, v9, v8
	v_add_u32_e32 v8, v8, v11
	v_mul_hi_u32 v9, v4, v10
	v_mul_lo_u32 v11, v4, v8
	v_mul_hi_u32 v13, v4, v8
	v_mul_hi_u32 v12, v7, v10
	v_mul_lo_u32 v10, v7, v10
	v_mul_hi_u32 v14, v7, v8
	v_add_co_u32_e32 v9, vcc, v9, v11
	v_addc_co_u32_e32 v11, vcc, 0, v13, vcc
	v_mul_lo_u32 v8, v7, v8
	v_add_co_u32_e32 v9, vcc, v9, v10
	v_addc_co_u32_e32 v9, vcc, v11, v12, vcc
	v_addc_co_u32_e32 v10, vcc, 0, v14, vcc
	v_add_co_u32_e32 v8, vcc, v9, v8
	v_addc_co_u32_e32 v9, vcc, 0, v10, vcc
	v_add_co_u32_e32 v4, vcc, v4, v8
	v_addc_co_u32_e32 v7, vcc, v7, v9, vcc
	v_mul_lo_u32 v8, s0, v7
	v_mul_hi_u32 v9, s0, v4
	v_mul_lo_u32 v10, s1, v4
	v_mul_lo_u32 v11, s0, v4
	v_add_u32_e32 v8, v9, v8
	v_add_u32_e32 v8, v8, v10
	v_mul_lo_u32 v12, v4, v8
	v_mul_hi_u32 v13, v4, v11
	v_mul_hi_u32 v14, v4, v8
	v_mul_hi_u32 v10, v7, v11
	v_mul_lo_u32 v11, v7, v11
	v_mul_hi_u32 v9, v7, v8
	v_add_co_u32_e32 v12, vcc, v13, v12
	v_addc_co_u32_e32 v13, vcc, 0, v14, vcc
	v_mul_lo_u32 v8, v7, v8
	v_add_co_u32_e32 v11, vcc, v12, v11
	v_addc_co_u32_e32 v10, vcc, v13, v10, vcc
	v_addc_co_u32_e32 v9, vcc, 0, v9, vcc
	v_add_co_u32_e32 v8, vcc, v10, v8
	v_addc_co_u32_e32 v9, vcc, 0, v9, vcc
	v_add_co_u32_e32 v4, vcc, v4, v8
	v_addc_co_u32_e32 v9, vcc, v7, v9, vcc
	v_mad_u64_u32 v[7:8], s[0:1], v5, v9, 0
	v_mul_hi_u32 v10, v5, v4
	v_add_co_u32_e32 v11, vcc, v10, v7
	v_addc_co_u32_e32 v12, vcc, 0, v8, vcc
	v_mad_u64_u32 v[7:8], s[0:1], v6, v4, 0
	v_mad_u64_u32 v[9:10], s[0:1], v6, v9, 0
	v_add_co_u32_e32 v4, vcc, v11, v7
	v_addc_co_u32_e32 v4, vcc, v12, v8, vcc
	v_addc_co_u32_e32 v7, vcc, 0, v10, vcc
	v_add_co_u32_e32 v4, vcc, v4, v9
	v_addc_co_u32_e32 v9, vcc, 0, v7, vcc
	v_mul_lo_u32 v10, s25, v4
	v_mul_lo_u32 v11, s24, v9
	v_mad_u64_u32 v[7:8], s[0:1], s24, v4, 0
	v_add3_u32 v8, v8, v11, v10
	v_sub_u32_e32 v10, v6, v8
	v_mov_b32_e32 v11, s25
	v_sub_co_u32_e32 v7, vcc, v5, v7
	v_subb_co_u32_e64 v10, s[0:1], v10, v11, vcc
	v_subrev_co_u32_e64 v11, s[0:1], s24, v7
	v_subbrev_co_u32_e64 v10, s[0:1], 0, v10, s[0:1]
	v_cmp_le_u32_e64 s[0:1], s25, v10
	v_cndmask_b32_e64 v12, 0, -1, s[0:1]
	v_cmp_le_u32_e64 s[0:1], s24, v11
	v_cndmask_b32_e64 v11, 0, -1, s[0:1]
	v_cmp_eq_u32_e64 s[0:1], s25, v10
	v_cndmask_b32_e64 v10, v12, v11, s[0:1]
	v_add_co_u32_e64 v11, s[0:1], 2, v4
	v_addc_co_u32_e64 v12, s[0:1], 0, v9, s[0:1]
	v_add_co_u32_e64 v13, s[0:1], 1, v4
	v_addc_co_u32_e64 v14, s[0:1], 0, v9, s[0:1]
	v_subb_co_u32_e32 v8, vcc, v6, v8, vcc
	v_cmp_ne_u32_e64 s[0:1], 0, v10
	v_cmp_le_u32_e32 vcc, s25, v8
	v_cndmask_b32_e64 v10, v14, v12, s[0:1]
	v_cndmask_b32_e64 v12, 0, -1, vcc
	v_cmp_le_u32_e32 vcc, s24, v7
	v_cndmask_b32_e64 v7, 0, -1, vcc
	v_cmp_eq_u32_e32 vcc, s25, v8
	v_cndmask_b32_e32 v7, v12, v7, vcc
	v_cmp_ne_u32_e32 vcc, 0, v7
	v_cndmask_b32_e64 v7, v13, v11, s[0:1]
	v_cndmask_b32_e32 v63, v9, v10, vcc
	v_cndmask_b32_e32 v62, v4, v7, vcc
.LBB0_4:                                ;   in Loop: Header=BB0_2 Depth=1
	s_andn2_saveexec_b64 s[0:1], s[26:27]
	s_cbranch_execz .LBB0_6
; %bb.5:                                ;   in Loop: Header=BB0_2 Depth=1
	v_cvt_f32_u32_e32 v4, s24
	s_sub_i32 s26, 0, s24
	v_mov_b32_e32 v63, v3
	v_rcp_iflag_f32_e32 v4, v4
	v_mul_f32_e32 v4, 0x4f7ffffe, v4
	v_cvt_u32_f32_e32 v4, v4
	v_mul_lo_u32 v7, s26, v4
	v_mul_hi_u32 v7, v4, v7
	v_add_u32_e32 v4, v4, v7
	v_mul_hi_u32 v4, v5, v4
	v_mul_lo_u32 v7, v4, s24
	v_add_u32_e32 v8, 1, v4
	v_sub_u32_e32 v7, v5, v7
	v_subrev_u32_e32 v9, s24, v7
	v_cmp_le_u32_e32 vcc, s24, v7
	v_cndmask_b32_e32 v7, v7, v9, vcc
	v_cndmask_b32_e32 v4, v4, v8, vcc
	v_add_u32_e32 v8, 1, v4
	v_cmp_le_u32_e32 vcc, s24, v7
	v_cndmask_b32_e32 v62, v4, v8, vcc
.LBB0_6:                                ;   in Loop: Header=BB0_2 Depth=1
	s_or_b64 exec, exec, s[0:1]
	v_mul_lo_u32 v4, v63, s24
	v_mul_lo_u32 v9, v62, s25
	v_mad_u64_u32 v[7:8], s[0:1], v62, s24, 0
	s_load_dwordx2 s[0:1], s[6:7], 0x0
	s_load_dwordx2 s[24:25], s[2:3], 0x0
	v_add3_u32 v4, v8, v9, v4
	v_sub_co_u32_e32 v5, vcc, v5, v7
	v_subb_co_u32_e32 v4, vcc, v6, v4, vcc
	s_waitcnt lgkmcnt(0)
	v_mul_lo_u32 v6, s0, v4
	v_mul_lo_u32 v7, s1, v5
	v_mad_u64_u32 v[1:2], s[0:1], s0, v5, v[1:2]
	v_mul_lo_u32 v4, s24, v4
	v_mul_lo_u32 v8, s25, v5
	v_mad_u64_u32 v[60:61], s[0:1], s24, v5, v[60:61]
	s_add_u32 s22, s22, 1
	s_addc_u32 s23, s23, 0
	s_add_u32 s2, s2, 8
	v_add3_u32 v61, v8, v61, v4
	s_addc_u32 s3, s3, 0
	v_mov_b32_e32 v4, s14
	s_add_u32 s6, s6, 8
	v_mov_b32_e32 v5, s15
	s_addc_u32 s7, s7, 0
	v_cmp_ge_u64_e32 vcc, s[22:23], v[4:5]
	s_add_u32 s20, s20, 8
	v_add3_u32 v2, v7, v2, v6
	s_addc_u32 s21, s21, 0
	s_cbranch_vccnz .LBB0_9
; %bb.7:                                ;   in Loop: Header=BB0_2 Depth=1
	v_mov_b32_e32 v5, v62
	v_mov_b32_e32 v6, v63
	s_branch .LBB0_2
.LBB0_8:
	v_mov_b32_e32 v61, v2
	v_mov_b32_e32 v63, v6
	;; [unrolled: 1-line block ×4, first 2 shown]
.LBB0_9:
	s_load_dwordx2 s[4:5], s[4:5], 0x28
	s_lshl_b64 s[6:7], s[14:15], 3
	s_add_u32 s2, s18, s6
	s_addc_u32 s3, s19, s7
                                        ; implicit-def: $vgpr64
	s_waitcnt lgkmcnt(0)
	v_cmp_gt_u64_e64 s[0:1], s[4:5], v[62:63]
	v_cmp_le_u64_e32 vcc, s[4:5], v[62:63]
	s_and_saveexec_b64 s[4:5], vcc
	s_xor_b64 s[4:5], exec, s[4:5]
; %bb.10:
	s_mov_b32 s14, 0x253c826
	v_mul_hi_u32 v1, v0, s14
	v_mul_u32_u24_e32 v1, 0x6e, v1
	v_sub_u32_e32 v64, v0, v1
                                        ; implicit-def: $vgpr0
                                        ; implicit-def: $vgpr1_vgpr2
; %bb.11:
	s_andn2_saveexec_b64 s[4:5], s[4:5]
	s_cbranch_execz .LBB0_13
; %bb.12:
	s_add_u32 s6, s16, s6
	s_addc_u32 s7, s17, s7
	s_load_dwordx2 s[6:7], s[6:7], 0x0
	s_mov_b32 s14, 0x253c826
	v_mul_hi_u32 v5, v0, s14
	s_waitcnt lgkmcnt(0)
	v_mul_lo_u32 v6, s7, v62
	v_mul_lo_u32 v7, s6, v63
	v_mad_u64_u32 v[3:4], s[6:7], s6, v62, 0
	v_mul_u32_u24_e32 v5, 0x6e, v5
	v_sub_u32_e32 v64, v0, v5
	v_add3_u32 v4, v4, v7, v6
	v_lshlrev_b64 v[3:4], 4, v[3:4]
	v_mov_b32_e32 v0, s9
	v_add_co_u32_e32 v3, vcc, s8, v3
	v_addc_co_u32_e32 v4, vcc, v0, v4, vcc
	v_lshlrev_b64 v[0:1], 4, v[1:2]
	v_lshlrev_b32_e32 v28, 4, v64
	v_add_co_u32_e32 v0, vcc, v3, v0
	v_addc_co_u32_e32 v1, vcc, v4, v1, vcc
	v_add_co_u32_e32 v16, vcc, v0, v28
	v_addc_co_u32_e32 v17, vcc, 0, v1, vcc
	;; [unrolled: 2-line block ×3, first 2 shown]
	v_add_co_u32_e32 v26, vcc, 0x2000, v16
	global_load_dwordx4 v[0:3], v[16:17], off
	global_load_dwordx4 v[4:7], v[16:17], off offset:1760
	global_load_dwordx4 v[8:11], v[16:17], off offset:3520
	;; [unrolled: 1-line block ×3, first 2 shown]
	v_addc_co_u32_e32 v27, vcc, 0, v17, vcc
	global_load_dwordx4 v[16:19], v[24:25], off offset:2944
	global_load_dwordx4 v[20:23], v[26:27], off offset:608
	v_add_u32_e32 v24, 0, v28
	s_waitcnt vmcnt(5)
	ds_write_b128 v24, v[0:3]
	s_waitcnt vmcnt(4)
	ds_write_b128 v24, v[4:7] offset:1760
	s_waitcnt vmcnt(3)
	ds_write_b128 v24, v[8:11] offset:3520
	;; [unrolled: 2-line block ×5, first 2 shown]
.LBB0_13:
	s_or_b64 exec, exec, s[4:5]
	v_lshl_add_u32 v185, v64, 4, 0
	s_waitcnt lgkmcnt(0)
	s_barrier
	ds_read_b128 v[16:19], v185 offset:9600
	ds_read_b128 v[20:23], v185 offset:960
	ds_read_b128 v[28:31], v185
	ds_read_b128 v[24:27], v185 offset:8640
	ds_read_b128 v[36:39], v185 offset:1920
	s_mov_b32 s4, 0x8eee2c13
	s_waitcnt lgkmcnt(3)
	v_add_f64 v[67:68], v[20:21], -v[16:17]
	s_mov_b32 s5, 0xbfed1bb4
	v_add_f64 v[69:70], v[22:23], -v[18:19]
	v_add_f64 v[87:88], v[22:23], v[18:19]
	s_waitcnt lgkmcnt(0)
	v_add_f64 v[73:74], v[36:37], -v[24:25]
	ds_read_b128 v[40:43], v185 offset:2880
	ds_read_b128 v[32:35], v185 offset:7680
	s_mov_b32 s14, 0xd9c712b6
	s_mov_b32 s8, 0xbb3a28a1
	v_mul_f64 v[99:100], v[67:68], s[4:5]
	s_mov_b32 s15, 0x3fda9628
	s_mov_b32 s9, 0xbfe82f19
	v_add_f64 v[65:66], v[20:21], v[16:17]
	v_mul_f64 v[89:90], v[69:70], s[4:5]
	v_add_f64 v[75:76], v[38:39], -v[26:27]
	v_add_f64 v[77:78], v[38:39], v[26:27]
	v_mul_f64 v[101:102], v[73:74], s[8:9]
	v_fma_f64 v[2:3], v[87:88], s[14:15], -v[99:100]
	s_waitcnt lgkmcnt(0)
	v_add_f64 v[81:82], v[40:41], -v[32:33]
	s_mov_b32 s6, 0x7f775887
	s_mov_b32 s18, 0xfd768dbf
	;; [unrolled: 1-line block ×6, first 2 shown]
	v_fma_f64 v[0:1], v[65:66], s[14:15], v[89:90]
	v_add_f64 v[71:72], v[36:37], v[24:25]
	v_mul_f64 v[95:96], v[75:76], s[8:9]
	v_add_f64 v[2:3], v[30:31], v[2:3]
	v_add_f64 v[83:84], v[42:43], -v[34:35]
	v_fma_f64 v[6:7], v[77:78], s[6:7], -v[101:102]
	v_add_f64 v[85:86], v[42:43], v[34:35]
	v_mul_f64 v[113:114], v[81:82], s[16:17]
	s_mov_b32 s20, 0x9bcd5057
	s_mov_b32 s22, 0x43842ef
	;; [unrolled: 1-line block ×4, first 2 shown]
	v_add_f64 v[0:1], v[28:29], v[0:1]
	v_fma_f64 v[4:5], v[71:72], s[6:7], v[95:96]
	v_add_f64 v[79:80], v[40:41], v[32:33]
	v_mul_f64 v[105:106], v[83:84], s[16:17]
	v_add_f64 v[2:3], v[6:7], v[2:3]
	v_fma_f64 v[6:7], v[85:86], s[20:21], -v[113:114]
	v_mul_f64 v[139:140], v[67:68], s[22:23]
	ds_read_b128 v[44:47], v185 offset:6720
	ds_read_b128 v[48:51], v185 offset:3840
	s_mov_b32 s26, 0x640f44db
	s_mov_b32 s27, 0xbfc2375f
	v_add_f64 v[0:1], v[4:5], v[0:1]
	v_fma_f64 v[4:5], v[79:80], s[20:21], v[105:106]
	s_waitcnt lgkmcnt(0)
	v_add_f64 v[93:94], v[48:49], -v[44:45]
	v_mul_f64 v[125:126], v[69:70], s[22:23]
	v_add_f64 v[2:3], v[6:7], v[2:3]
	v_fma_f64 v[6:7], v[87:88], s[26:27], -v[139:140]
	v_mul_f64 v[141:142], v[73:74], s[16:17]
	s_mov_b32 s25, 0x3fefac9e
	s_mov_b32 s24, s22
	;; [unrolled: 1-line block ×4, first 2 shown]
	v_add_f64 v[97:98], v[50:51], -v[46:47]
	v_add_f64 v[103:104], v[50:51], v[46:47]
	v_mul_f64 v[121:122], v[93:94], s[24:25]
	v_add_f64 v[0:1], v[4:5], v[0:1]
	v_fma_f64 v[4:5], v[65:66], s[26:27], v[125:126]
	v_mul_f64 v[131:132], v[75:76], s[16:17]
	v_add_f64 v[6:7], v[30:31], v[6:7]
	v_fma_f64 v[14:15], v[77:78], s[20:21], -v[141:142]
	v_mul_f64 v[137:138], v[81:82], s[34:35]
	s_mov_b32 s36, 0xf8bb580b
	s_mov_b32 s37, 0x3fe14ced
	;; [unrolled: 1-line block ×4, first 2 shown]
	v_add_f64 v[91:92], v[48:49], v[44:45]
	v_mul_f64 v[109:110], v[97:98], s[24:25]
	v_fma_f64 v[10:11], v[103:104], s[26:27], -v[121:122]
	v_add_f64 v[4:5], v[28:29], v[4:5]
	v_fma_f64 v[12:13], v[71:72], s[20:21], v[131:132]
	v_mul_f64 v[129:130], v[83:84], s[34:35]
	v_add_f64 v[6:7], v[14:15], v[6:7]
	v_fma_f64 v[14:15], v[85:86], s[14:15], -v[137:138]
	v_mul_f64 v[135:136], v[93:94], s[28:29]
	s_mov_b32 s30, 0x8764f0ba
	s_mov_b32 s31, 0x3feaeb8c
	v_fma_f64 v[8:9], v[91:92], s[26:27], v[109:110]
	v_add_f64 v[4:5], v[12:13], v[4:5]
	v_fma_f64 v[12:13], v[79:80], s[14:15], v[129:130]
	v_mul_f64 v[127:128], v[97:98], s[28:29]
	v_add_f64 v[2:3], v[10:11], v[2:3]
	v_add_f64 v[6:7], v[14:15], v[6:7]
	v_fma_f64 v[10:11], v[103:104], s[30:31], -v[135:136]
	v_mul_f64 v[153:154], v[67:68], s[8:9]
	v_add_f64 v[0:1], v[8:9], v[0:1]
	v_mul_f64 v[147:148], v[69:70], s[8:9]
	v_add_f64 v[4:5], v[12:13], v[4:5]
	v_fma_f64 v[8:9], v[91:92], s[30:31], v[127:128]
	v_mul_f64 v[157:158], v[73:74], s[24:25]
	v_mul_f64 v[165:166], v[69:70], s[18:19]
	v_add_f64 v[6:7], v[10:11], v[6:7]
	v_fma_f64 v[10:11], v[87:88], s[6:7], -v[153:154]
	v_mul_f64 v[175:176], v[67:68], s[18:19]
	v_mul_f64 v[145:146], v[75:76], s[24:25]
	;; [unrolled: 1-line block ×3, first 2 shown]
	v_add_f64 v[4:5], v[8:9], v[4:5]
	v_fma_f64 v[8:9], v[65:66], s[6:7], v[147:148]
	v_fma_f64 v[155:156], v[77:78], s[26:27], -v[157:158]
	v_fma_f64 v[159:160], v[65:66], s[20:21], v[165:166]
	v_add_f64 v[10:11], v[30:31], v[10:11]
	v_mul_f64 v[171:172], v[75:76], s[36:37]
	v_fma_f64 v[163:164], v[87:88], s[20:21], -v[175:176]
	v_mul_f64 v[179:180], v[73:74], s[36:37]
	v_fma_f64 v[151:152], v[71:72], s[26:27], v[145:146]
	v_add_f64 v[8:9], v[28:29], v[8:9]
	v_mul_f64 v[149:150], v[83:84], s[28:29]
	v_add_f64 v[169:170], v[28:29], v[159:160]
	v_add_f64 v[10:11], v[155:156], v[10:11]
	v_fma_f64 v[155:156], v[85:86], s[30:31], -v[161:162]
	v_fma_f64 v[173:174], v[71:72], s[30:31], v[171:172]
	v_add_f64 v[163:164], v[30:31], v[163:164]
	v_fma_f64 v[177:178], v[77:78], s[30:31], -v[179:180]
	v_mul_f64 v[167:168], v[83:84], s[8:9]
	v_mul_f64 v[183:184], v[81:82], s[8:9]
	ds_read_b128 v[52:55], v185 offset:4800
	ds_read_b128 v[56:59], v185 offset:5760
	v_add_f64 v[8:9], v[151:152], v[8:9]
	v_fma_f64 v[151:152], v[79:80], s[30:31], v[149:150]
	v_add_f64 v[10:11], v[155:156], v[10:11]
	v_mul_f64 v[155:156], v[97:98], s[18:19]
	s_waitcnt lgkmcnt(0)
	v_add_f64 v[115:116], v[54:55], -v[58:59]
	v_add_f64 v[107:108], v[52:53], -v[56:57]
	v_mul_f64 v[159:160], v[93:94], s[18:19]
	v_add_f64 v[169:170], v[173:174], v[169:170]
	v_add_f64 v[177:178], v[177:178], v[163:164]
	v_fma_f64 v[190:191], v[79:80], s[6:7], v[167:168]
	v_fma_f64 v[192:193], v[85:86], s[6:7], -v[183:184]
	v_mul_f64 v[173:174], v[97:98], s[34:35]
	v_mul_f64 v[181:182], v[93:94], s[34:35]
	v_add_f64 v[111:112], v[52:53], v[56:57]
	v_mul_f64 v[119:120], v[115:116], s[36:37]
	v_add_f64 v[117:118], v[54:55], v[58:59]
	v_mul_f64 v[123:124], v[107:108], s[36:37]
	v_mul_f64 v[133:134], v[115:116], s[8:9]
	;; [unrolled: 1-line block ×3, first 2 shown]
	v_add_f64 v[8:9], v[151:152], v[8:9]
	v_fma_f64 v[194:195], v[91:92], s[20:21], v[155:156]
	v_fma_f64 v[196:197], v[103:104], s[20:21], -v[159:160]
	v_mul_f64 v[151:152], v[115:116], s[34:35]
	v_mul_f64 v[163:164], v[107:108], s[34:35]
	v_add_f64 v[190:191], v[190:191], v[169:170]
	v_add_f64 v[192:193], v[192:193], v[177:178]
	v_fma_f64 v[198:199], v[91:92], s[14:15], v[173:174]
	v_fma_f64 v[200:201], v[103:104], s[14:15], -v[181:182]
	v_mul_f64 v[169:170], v[115:116], s[22:23]
	v_mul_f64 v[177:178], v[107:108], s[22:23]
	v_fma_f64 v[12:13], v[111:112], s[30:31], v[119:120]
	v_fma_f64 v[14:15], v[117:118], s[30:31], -v[123:124]
	v_fma_f64 v[186:187], v[111:112], s[6:7], v[133:134]
	v_fma_f64 v[188:189], v[117:118], s[6:7], -v[143:144]
	v_add_f64 v[194:195], v[194:195], v[8:9]
	v_add_f64 v[196:197], v[196:197], v[10:11]
	v_fma_f64 v[202:203], v[111:112], s[14:15], v[151:152]
	v_fma_f64 v[204:205], v[117:118], s[14:15], -v[163:164]
	v_add_f64 v[190:191], v[198:199], v[190:191]
	v_add_f64 v[192:193], v[200:201], v[192:193]
	;; [unrolled: 4-line block ×3, first 2 shown]
	v_add_f64 v[8:9], v[186:187], v[4:5]
	v_add_f64 v[10:11], v[188:189], v[6:7]
	;; [unrolled: 1-line block ×6, first 2 shown]
	v_cmp_gt_u32_e32 vcc, 60, v64
	s_barrier
	s_and_saveexec_b64 s[38:39], vcc
	s_cbranch_execz .LBB0_15
; %bb.14:
	v_add_f64 v[22:23], v[30:31], v[22:23]
	v_add_f64 v[20:21], v[28:29], v[20:21]
	v_mul_f64 v[188:189], v[87:88], s[14:15]
	v_mul_f64 v[200:201], v[87:88], s[20:21]
	;; [unrolled: 1-line block ×6, first 2 shown]
	v_add_f64 v[22:23], v[22:23], v[38:39]
	v_add_f64 v[36:37], v[20:21], v[36:37]
	;; [unrolled: 1-line block ×4, first 2 shown]
	v_mul_f64 v[202:203], v[71:72], s[6:7]
	v_mul_f64 v[220:221], v[85:86], s[20:21]
	v_add_f64 v[101:102], v[101:102], v[204:205]
	v_add_f64 v[89:90], v[186:187], -v[89:90]
	v_add_f64 v[22:23], v[22:23], v[42:43]
	v_add_f64 v[36:37], v[36:37], v[40:41]
	;; [unrolled: 1-line block ×3, first 2 shown]
	v_mul_f64 v[192:193], v[87:88], s[26:27]
	v_mul_f64 v[196:197], v[87:88], s[6:7]
	;; [unrolled: 1-line block ×4, first 2 shown]
	v_add_f64 v[179:180], v[179:180], v[216:217]
	v_add_f64 v[175:176], v[30:31], v[175:176]
	v_add_f64 v[165:166], v[198:199], -v[165:166]
	v_add_f64 v[22:23], v[22:23], v[50:51]
	v_add_f64 v[36:37], v[36:37], v[48:49]
	v_mul_f64 v[218:219], v[79:80], s[20:21]
	v_mul_f64 v[234:235], v[103:104], s[26:27]
	v_add_f64 v[113:114], v[113:114], v[220:221]
	v_add_f64 v[99:100], v[101:102], v[99:100]
	v_add_f64 v[95:96], v[202:203], -v[95:96]
	v_add_f64 v[101:102], v[28:29], v[89:90]
	v_mul_f64 v[87:88], v[87:88], s[30:31]
	v_mul_f64 v[48:49], v[69:70], s[28:29]
	;; [unrolled: 1-line block ×4, first 2 shown]
	v_add_f64 v[139:140], v[139:140], v[192:193]
	v_mul_f64 v[194:195], v[65:66], s[6:7]
	v_mul_f64 v[212:213], v[77:78], s[26:27]
	;; [unrolled: 1-line block ×4, first 2 shown]
	v_add_f64 v[183:184], v[183:184], v[230:231]
	v_add_f64 v[175:176], v[179:180], v[175:176]
	v_add_f64 v[171:172], v[214:215], -v[171:172]
	v_add_f64 v[153:154], v[153:154], v[196:197]
	v_add_f64 v[165:166], v[28:29], v[165:166]
	;; [unrolled: 1-line block ×4, first 2 shown]
	v_mul_f64 v[179:180], v[117:118], s[30:31]
	v_add_f64 v[121:122], v[121:122], v[234:235]
	v_add_f64 v[99:100], v[113:114], v[99:100]
	v_add_f64 v[105:106], v[218:219], -v[105:106]
	v_add_f64 v[95:96], v[95:96], v[101:102]
	v_mul_f64 v[77:78], v[77:78], s[14:15]
	v_fma_f64 v[113:114], v[67:68], s[36:37], v[87:88]
	v_fma_f64 v[67:68], v[67:68], s[28:29], v[87:88]
	v_mul_f64 v[69:70], v[75:76], s[4:5]
	v_fma_f64 v[52:53], v[65:66], s[30:31], -v[48:49]
	v_mul_f64 v[206:207], v[71:72], s[20:21]
	v_add_f64 v[141:142], v[141:142], v[208:209]
	v_add_f64 v[139:140], v[30:31], v[139:140]
	v_add_f64 v[125:126], v[190:191], -v[125:126]
	v_mul_f64 v[210:211], v[71:72], s[26:27]
	v_mul_f64 v[228:229], v[85:86], s[30:31]
	v_add_f64 v[181:182], v[181:182], v[244:245]
	v_add_f64 v[175:176], v[183:184], v[175:176]
	v_add_f64 v[167:168], v[200:201], -v[167:168]
	v_add_f64 v[157:158], v[157:158], v[212:213]
	v_add_f64 v[153:154], v[30:31], v[153:154]
	;; [unrolled: 1-line block ×3, first 2 shown]
	v_add_f64 v[194:195], v[194:195], -v[147:148]
	v_fma_f64 v[48:49], v[65:66], s[30:31], v[48:49]
	v_add_f64 v[22:23], v[22:23], v[58:59]
	v_add_f64 v[36:37], v[36:37], v[56:57]
	v_mul_f64 v[224:225], v[85:86], s[14:15]
	v_add_f64 v[101:102], v[123:124], v[179:180]
	v_add_f64 v[99:100], v[121:122], v[99:100]
	;; [unrolled: 1-line block ×3, first 2 shown]
	v_mul_f64 v[85:86], v[85:86], s[26:27]
	v_fma_f64 v[38:39], v[73:74], s[34:35], v[77:78]
	v_add_f64 v[105:106], v[30:31], v[113:114]
	v_mul_f64 v[54:55], v[83:84], s[22:23]
	v_fma_f64 v[65:66], v[73:74], s[4:5], v[77:78]
	v_add_f64 v[30:31], v[30:31], v[67:68]
	v_fma_f64 v[67:68], v[71:72], s[14:15], -v[69:70]
	v_add_f64 v[52:53], v[28:29], v[52:53]
	v_mul_f64 v[222:223], v[79:80], s[14:15]
	v_add_f64 v[139:140], v[141:142], v[139:140]
	v_add_f64 v[141:142], v[206:207], -v[131:132]
	v_add_f64 v[125:126], v[28:29], v[125:126]
	v_mul_f64 v[226:227], v[79:80], s[30:31]
	v_add_f64 v[171:172], v[181:182], v[175:176]
	v_mul_f64 v[181:182], v[117:118], s[14:15]
	v_add_f64 v[161:162], v[161:162], v[228:229]
	v_add_f64 v[153:154], v[157:158], v[153:154]
	;; [unrolled: 1-line block ×3, first 2 shown]
	v_add_f64 v[145:146], v[210:211], -v[145:146]
	v_add_f64 v[167:168], v[28:29], v[194:195]
	v_fma_f64 v[56:57], v[71:72], s[14:15], v[69:70]
	v_add_f64 v[28:29], v[28:29], v[48:49]
	v_add_f64 v[22:23], v[22:23], v[46:47]
	;; [unrolled: 1-line block ×4, first 2 shown]
	v_mul_f64 v[101:102], v[103:104], s[6:7]
	v_fma_f64 v[40:41], v[81:82], s[24:25], v[85:86]
	v_add_f64 v[38:39], v[38:39], v[105:106]
	v_mul_f64 v[50:51], v[97:98], s[8:9]
	v_fma_f64 v[48:49], v[81:82], s[22:23], v[85:86]
	v_add_f64 v[30:31], v[65:66], v[30:31]
	v_fma_f64 v[58:59], v[79:80], s[26:27], -v[54:55]
	v_add_f64 v[44:45], v[67:68], v[52:53]
	v_mul_f64 v[232:233], v[91:92], s[26:27]
	v_mul_f64 v[236:237], v[91:92], s[30:31]
	;; [unrolled: 1-line block ×3, first 2 shown]
	v_add_f64 v[137:138], v[137:138], v[224:225]
	v_add_f64 v[129:130], v[222:223], -v[129:130]
	v_add_f64 v[125:126], v[141:142], v[125:126]
	v_mul_f64 v[216:217], v[91:92], s[20:21]
	v_mul_f64 v[240:241], v[103:104], s[20:21]
	v_add_f64 v[153:154], v[161:162], v[153:154]
	v_add_f64 v[161:162], v[163:164], v[181:182]
	v_add_f64 v[149:150], v[226:227], -v[149:150]
	v_add_f64 v[163:164], v[145:146], v[167:168]
	v_mul_f64 v[242:243], v[91:92], s[14:15]
	v_fma_f64 v[46:47], v[79:80], s[26:27], v[54:55]
	v_add_f64 v[28:29], v[56:57], v[28:29]
	v_add_f64 v[22:23], v[22:23], v[34:35]
	;; [unrolled: 1-line block ×3, first 2 shown]
	v_mul_f64 v[42:43], v[117:118], s[20:21]
	v_add_f64 v[38:39], v[40:41], v[38:39]
	v_mul_f64 v[40:41], v[115:116], s[18:19]
	v_fma_f64 v[52:53], v[93:94], s[8:9], v[101:102]
	v_add_f64 v[30:31], v[48:49], v[30:31]
	v_fma_f64 v[48:49], v[91:92], s[6:7], -v[50:51]
	v_add_f64 v[34:35], v[58:59], v[44:45]
	v_mul_f64 v[246:247], v[111:112], s[30:31]
	v_add_f64 v[109:110], v[232:233], -v[109:110]
	v_mul_f64 v[198:199], v[111:112], s[6:7]
	v_mul_f64 v[183:184], v[117:118], s[6:7]
	v_add_f64 v[135:136], v[135:136], v[238:239]
	v_add_f64 v[137:138], v[137:138], v[139:140]
	v_add_f64 v[127:128], v[236:237], -v[127:128]
	v_add_f64 v[125:126], v[129:130], v[125:126]
	v_mul_f64 v[196:197], v[111:112], s[14:15]
	v_add_f64 v[159:160], v[159:160], v[240:241]
	v_add_f64 v[155:156], v[216:217], -v[155:156]
	v_add_f64 v[149:150], v[149:150], v[163:164]
	v_mul_f64 v[230:231], v[117:118], s[26:27]
	v_mul_f64 v[175:176], v[111:112], s[26:27]
	v_add_f64 v[173:174], v[242:243], -v[173:174]
	s_mov_b32 s25, 0x3fe82f19
	s_mov_b32 s24, s8
	v_fma_f64 v[103:104], v[93:94], s[24:25], v[101:102]
	v_fma_f64 v[36:37], v[91:92], s[6:7], v[50:51]
	v_add_f64 v[28:29], v[46:47], v[28:29]
	v_add_f64 v[22:23], v[22:23], v[26:27]
	;; [unrolled: 1-line block ×3, first 2 shown]
	v_fma_f64 v[44:45], v[107:108], s[18:19], v[42:43]
	v_add_f64 v[30:31], v[52:53], v[30:31]
	v_fma_f64 v[46:47], v[111:112], s[20:21], -v[40:41]
	v_add_f64 v[32:33], v[48:49], v[34:35]
	v_add_f64 v[99:100], v[246:247], -v[119:120]
	v_add_f64 v[95:96], v[109:110], v[95:96]
	v_add_f64 v[141:142], v[143:144], v[183:184]
	;; [unrolled: 1-line block ×3, first 2 shown]
	v_add_f64 v[133:134], v[198:199], -v[133:134]
	v_add_f64 v[125:126], v[127:128], v[125:126]
	v_add_f64 v[153:154], v[159:160], v[153:154]
	v_add_f64 v[151:152], v[196:197], -v[151:152]
	v_add_f64 v[139:140], v[155:156], v[149:150]
	v_add_f64 v[177:178], v[177:178], v[230:231]
	v_add_f64 v[165:166], v[175:176], -v[169:170]
	v_add_f64 v[157:158], v[173:174], v[157:158]
	v_fma_f64 v[34:35], v[107:108], s[16:17], v[42:43]
	v_add_f64 v[38:39], v[103:104], v[38:39]
	v_fma_f64 v[40:41], v[111:112], s[20:21], v[40:41]
	v_add_f64 v[36:37], v[36:37], v[28:29]
	v_add_f64 v[28:29], v[22:23], v[18:19]
	;; [unrolled: 1-line block ×12, first 2 shown]
	s_movk_i32 s4, 0xa0
	v_mad_u32_u24 v16, v64, s4, v185
	v_add_f64 v[32:33], v[34:35], v[38:39]
	v_add_f64 v[30:31], v[40:41], v[36:37]
	ds_write_b128 v16, v[26:29]
	ds_write_b128 v16, v[22:25] offset:16
	ds_write_b128 v16, v[18:21] offset:32
	ds_write_b128 v16, v[87:90] offset:48
	ds_write_b128 v16, v[129:132] offset:64
	ds_write_b128 v16, v[145:148] offset:80
	ds_write_b128 v16, v[4:7] offset:96
	ds_write_b128 v16, v[0:3] offset:112
	ds_write_b128 v16, v[8:11] offset:128
	ds_write_b128 v16, v[12:15] offset:144
	ds_write_b128 v16, v[30:33] offset:160
.LBB0_15:
	s_or_b64 exec, exec, s[38:39]
	s_movk_i32 s4, 0x75
	v_mul_lo_u16_sdwa v16, v64, s4 dst_sel:DWORD dst_unused:UNUSED_PAD src0_sel:BYTE_0 src1_sel:DWORD
	v_sub_u16_sdwa v17, v64, v16 dst_sel:DWORD dst_unused:UNUSED_PAD src0_sel:DWORD src1_sel:BYTE_1
	v_lshrrev_b16_e32 v17, 1, v17
	v_and_b32_e32 v17, 0x7f, v17
	v_add_u16_sdwa v16, v17, v16 dst_sel:DWORD dst_unused:UNUSED_PAD src0_sel:DWORD src1_sel:BYTE_1
	v_lshrrev_b16_e32 v65, 3, v16
	v_mul_lo_u16_e32 v16, 11, v65
	v_sub_u16_e32 v66, v64, v16
	v_mov_b32_e32 v16, 5
	v_mul_u32_u24_sdwa v16, v66, v16 dst_sel:DWORD dst_unused:UNUSED_PAD src0_sel:BYTE_0 src1_sel:DWORD
	v_lshlrev_b32_e32 v36, 4, v16
	s_load_dwordx2 s[2:3], s[2:3], 0x0
	s_waitcnt lgkmcnt(0)
	s_barrier
	global_load_dwordx4 v[16:19], v36, s[12:13]
	global_load_dwordx4 v[20:23], v36, s[12:13] offset:16
	global_load_dwordx4 v[24:27], v36, s[12:13] offset:32
	;; [unrolled: 1-line block ×4, first 2 shown]
	ds_read_b128 v[36:39], v185
	ds_read_b128 v[40:43], v185 offset:1760
	ds_read_b128 v[44:47], v185 offset:3520
	;; [unrolled: 1-line block ×5, first 2 shown]
	v_mov_b32_e32 v67, 4
	v_mul_u32_u24_e32 v65, 0x420, v65
	v_lshlrev_b32_sdwa v66, v67, v66 dst_sel:DWORD dst_unused:UNUSED_PAD src0_sel:DWORD src1_sel:BYTE_0
	v_add3_u32 v75, 0, v65, v66
	s_mov_b32 s4, 0xe8584caa
	s_mov_b32 s5, 0x3febb67a
	;; [unrolled: 1-line block ×4, first 2 shown]
	s_movk_i32 s8, 0x42
	v_cmp_gt_u32_e32 vcc, s8, v64
	s_waitcnt vmcnt(0) lgkmcnt(0)
	s_barrier
	v_mul_f64 v[65:66], v[42:43], v[18:19]
	v_mul_f64 v[18:19], v[40:41], v[18:19]
	;; [unrolled: 1-line block ×10, first 2 shown]
	v_fma_f64 v[48:49], v[48:49], v[24:25], -v[69:70]
	v_fma_f64 v[24:25], v[50:51], v[24:25], v[26:27]
	v_fma_f64 v[26:27], v[58:59], v[28:29], v[71:72]
	v_fma_f64 v[28:29], v[56:57], v[28:29], -v[30:31]
	v_fma_f64 v[44:45], v[44:45], v[20:21], -v[67:68]
	v_fma_f64 v[20:21], v[46:47], v[20:21], v[22:23]
	v_fma_f64 v[22:23], v[52:53], v[32:33], -v[73:74]
	v_fma_f64 v[30:31], v[54:55], v[32:33], v[34:35]
	;; [unrolled: 2-line block ×3, first 2 shown]
	v_add_f64 v[18:19], v[24:25], v[26:27]
	v_add_f64 v[34:35], v[48:49], v[28:29]
	;; [unrolled: 1-line block ×3, first 2 shown]
	v_add_f64 v[52:53], v[24:25], -v[26:27]
	v_add_f64 v[42:43], v[44:45], v[22:23]
	v_add_f64 v[54:55], v[48:49], -v[28:29]
	v_add_f64 v[46:47], v[20:21], -v[30:31]
	v_add_f64 v[50:51], v[38:39], v[20:21]
	v_fma_f64 v[18:19], v[18:19], -0.5, v[16:17]
	v_fma_f64 v[34:35], v[34:35], -0.5, v[32:33]
	v_add_f64 v[20:21], v[20:21], v[30:31]
	v_add_f64 v[44:45], v[44:45], -v[22:23]
	v_add_f64 v[32:33], v[32:33], v[48:49]
	v_add_f64 v[16:17], v[16:17], v[24:25]
	;; [unrolled: 1-line block ×3, first 2 shown]
	v_fma_f64 v[24:25], v[42:43], -0.5, v[36:37]
	v_fma_f64 v[36:37], v[54:55], s[6:7], v[18:19]
	v_fma_f64 v[40:41], v[52:53], s[6:7], v[34:35]
	;; [unrolled: 1-line block ×4, first 2 shown]
	v_fma_f64 v[20:21], v[20:21], -0.5, v[38:39]
	v_add_f64 v[28:29], v[32:33], v[28:29]
	v_add_f64 v[26:27], v[16:17], v[26:27]
	;; [unrolled: 1-line block ×3, first 2 shown]
	v_mul_f64 v[16:17], v[36:37], s[4:5]
	v_mul_f64 v[32:33], v[40:41], -0.5
	v_mul_f64 v[38:39], v[34:35], s[6:7]
	v_mul_f64 v[42:43], v[18:19], -0.5
	v_fma_f64 v[48:49], v[46:47], s[4:5], v[24:25]
	v_fma_f64 v[46:47], v[46:47], s[6:7], v[24:25]
	;; [unrolled: 1-line block ×4, first 2 shown]
	v_fma_f64 v[34:35], v[34:35], 0.5, v[16:17]
	v_fma_f64 v[52:53], v[18:19], s[4:5], v[32:33]
	v_fma_f64 v[38:39], v[36:37], 0.5, v[38:39]
	v_fma_f64 v[40:41], v[40:41], s[6:7], v[42:43]
	v_add_f64 v[16:17], v[22:23], v[28:29]
	v_add_f64 v[18:19], v[30:31], v[26:27]
	v_add_f64 v[28:29], v[22:23], -v[28:29]
	v_add_f64 v[30:31], v[30:31], -v[26:27]
	v_add_f64 v[20:21], v[48:49], v[34:35]
	v_add_f64 v[24:25], v[46:47], v[52:53]
	;; [unrolled: 1-line block ×4, first 2 shown]
	v_add_f64 v[32:33], v[48:49], -v[34:35]
	v_add_f64 v[36:37], v[46:47], -v[52:53]
	;; [unrolled: 1-line block ×4, first 2 shown]
	ds_write_b128 v75, v[16:19]
	ds_write_b128 v75, v[28:31] offset:528
	ds_write_b128 v75, v[20:23] offset:176
	ds_write_b128 v75, v[24:27] offset:352
	ds_write_b128 v75, v[32:35] offset:704
	ds_write_b128 v75, v[36:39] offset:880
	s_waitcnt lgkmcnt(0)
	s_barrier
	s_and_saveexec_b64 s[4:5], vcc
	s_cbranch_execz .LBB0_17
; %bb.16:
	ds_read_b128 v[16:19], v185
	ds_read_b128 v[20:23], v185 offset:1056
	ds_read_b128 v[24:27], v185 offset:2112
	;; [unrolled: 1-line block ×9, first 2 shown]
.LBB0_17:
	s_or_b64 exec, exec, s[4:5]
	s_waitcnt lgkmcnt(0)
	s_barrier
	s_and_saveexec_b64 s[4:5], vcc
	s_cbranch_execz .LBB0_19
; %bb.18:
	v_add_u32_e32 v40, 0xffffffbe, v64
	v_cndmask_b32_e32 v40, v40, v64, vcc
	v_mul_i32_i24_e32 v40, 9, v40
	v_mov_b32_e32 v41, 0
	v_lshlrev_b64 v[40:41], 4, v[40:41]
	v_mov_b32_e32 v42, s13
	v_add_co_u32_e32 v81, vcc, s12, v40
	v_addc_co_u32_e32 v82, vcc, v42, v41, vcc
	global_load_dwordx4 v[40:43], v[81:82], off offset:896
	global_load_dwordx4 v[44:47], v[81:82], off offset:928
	global_load_dwordx4 v[48:51], v[81:82], off offset:992
	global_load_dwordx4 v[52:55], v[81:82], off offset:960
	global_load_dwordx4 v[56:59], v[81:82], off offset:912
	global_load_dwordx4 v[65:68], v[81:82], off offset:944
	global_load_dwordx4 v[69:72], v[81:82], off offset:1008
	global_load_dwordx4 v[73:76], v[81:82], off offset:976
	global_load_dwordx4 v[77:80], v[81:82], off offset:880
	s_mov_b32 s6, 0x134454ff
	s_mov_b32 s7, 0x3fee6f0e
	;; [unrolled: 1-line block ×12, first 2 shown]
	s_waitcnt vmcnt(8)
	v_mul_f64 v[81:82], v[24:25], v[42:43]
	s_waitcnt vmcnt(7)
	v_mul_f64 v[83:84], v[32:33], v[46:47]
	;; [unrolled: 2-line block ×8, first 2 shown]
	v_mul_f64 v[58:59], v[28:29], v[58:59]
	v_mul_f64 v[67:68], v[36:37], v[67:68]
	;; [unrolled: 1-line block ×7, first 2 shown]
	s_waitcnt vmcnt(0)
	v_mul_f64 v[97:98], v[22:23], v[79:80]
	v_mul_f64 v[71:72], v[12:13], v[71:72]
	;; [unrolled: 1-line block ×3, first 2 shown]
	v_fma_f64 v[26:27], v[26:27], v[40:41], v[81:82]
	v_fma_f64 v[34:35], v[34:35], v[44:45], v[83:84]
	;; [unrolled: 1-line block ×4, first 2 shown]
	v_fma_f64 v[28:29], v[28:29], v[56:57], -v[89:90]
	v_fma_f64 v[36:37], v[36:37], v[65:66], -v[91:92]
	;; [unrolled: 1-line block ×4, first 2 shown]
	v_fma_f64 v[6:7], v[30:31], v[56:57], v[58:59]
	v_fma_f64 v[30:31], v[38:39], v[65:66], v[67:68]
	;; [unrolled: 1-line block ×3, first 2 shown]
	v_fma_f64 v[32:33], v[32:33], v[44:45], -v[46:47]
	v_fma_f64 v[4:5], v[4:5], v[52:53], -v[54:55]
	;; [unrolled: 1-line block ×5, first 2 shown]
	v_fma_f64 v[14:15], v[14:15], v[69:70], v[71:72]
	v_fma_f64 v[22:23], v[22:23], v[77:78], v[79:80]
	v_add_f64 v[38:39], v[26:27], -v[34:35]
	v_add_f64 v[40:41], v[10:11], -v[81:82]
	v_add_f64 v[46:47], v[34:35], v[81:82]
	v_add_f64 v[48:49], v[28:29], -v[36:37]
	v_add_f64 v[50:51], v[12:13], -v[0:1]
	v_add_f64 v[52:53], v[36:37], v[0:1]
	v_add_f64 v[69:70], v[30:31], v[2:3]
	;; [unrolled: 1-line block ×4, first 2 shown]
	v_add_f64 v[42:43], v[32:33], -v[4:5]
	v_add_f64 v[54:55], v[6:7], -v[14:15]
	;; [unrolled: 1-line block ×11, first 2 shown]
	v_add_f64 v[91:92], v[6:7], v[14:15]
	v_add_f64 v[93:94], v[18:19], v[26:27]
	;; [unrolled: 1-line block ×3, first 2 shown]
	v_fma_f64 v[40:41], v[46:47], -0.5, v[18:19]
	v_add_f64 v[46:47], v[48:49], v[50:51]
	v_fma_f64 v[48:49], v[52:53], -0.5, v[20:21]
	v_fma_f64 v[52:53], v[69:70], -0.5, v[22:23]
	;; [unrolled: 1-line block ×4, first 2 shown]
	v_add_f64 v[44:45], v[24:25], -v[8:9]
	v_add_f64 v[67:68], v[36:37], -v[0:1]
	;; [unrolled: 1-line block ×3, first 2 shown]
	v_add_f64 v[6:7], v[22:23], v[6:7]
	v_add_f64 v[50:51], v[58:59], v[65:66]
	;; [unrolled: 1-line block ×5, first 2 shown]
	v_fma_f64 v[22:23], v[91:92], -0.5, v[22:23]
	v_fma_f64 v[79:80], v[54:55], s[16:17], v[48:49]
	v_fma_f64 v[85:86], v[42:43], s[16:17], v[18:19]
	;; [unrolled: 1-line block ×17, first 2 shown]
	v_add_f64 v[75:76], v[93:94], v[34:35]
	v_add_f64 v[6:7], v[6:7], v[30:31]
	v_fma_f64 v[77:78], v[42:43], s[14:15], v[77:78]
	v_fma_f64 v[83:84], v[67:68], s[14:15], v[83:84]
	;; [unrolled: 1-line block ×9, first 2 shown]
	v_add_f64 v[95:96], v[32:33], v[4:5]
	v_add_f64 v[97:98], v[24:25], v[8:9]
	v_fma_f64 v[87:88], v[54:55], s[20:21], v[87:88]
	v_fma_f64 v[54:55], v[50:51], s[8:9], v[83:84]
	v_fma_f64 v[56:57], v[73:74], s[8:9], v[89:90]
	v_fma_f64 v[69:70], v[38:39], s[8:9], v[77:78]
	v_fma_f64 v[22:23], v[73:74], s[8:9], v[22:23]
	v_fma_f64 v[42:43], v[50:51], s[8:9], v[42:43]
	v_mul_f64 v[50:51], v[44:45], s[16:17]
	v_mul_f64 v[73:74], v[46:47], s[20:21]
	v_add_f64 v[75:76], v[75:76], v[81:82]
	v_add_f64 v[77:78], v[6:7], v[2:3]
	v_fma_f64 v[30:31], v[95:96], -0.5, v[16:17]
	v_fma_f64 v[38:39], v[38:39], s[8:9], v[40:41]
	v_add_f64 v[20:21], v[20:21], v[28:29]
	v_add_f64 v[26:27], v[26:27], -v[10:11]
	v_fma_f64 v[40:41], v[22:23], s[8:9], v[50:51]
	v_fma_f64 v[50:51], v[42:43], s[18:19], v[73:74]
	v_add_f64 v[73:74], v[75:76], v[10:11]
	v_add_f64 v[75:76], v[77:78], v[14:15]
	v_fma_f64 v[77:78], v[97:98], -0.5, v[16:17]
	v_add_f64 v[16:17], v[16:17], v[24:25]
	v_add_f64 v[34:35], v[34:35], -v[81:82]
	v_add_f64 v[20:21], v[20:21], v[36:37]
	v_fma_f64 v[67:68], v[65:66], s[8:9], v[87:88]
	v_mul_f64 v[48:49], v[54:55], s[18:19]
	v_mul_f64 v[65:66], v[56:57], s[8:9]
	v_fma_f64 v[71:72], v[58:59], s[8:9], v[85:86]
	v_add_f64 v[79:80], v[24:25], -v[32:33]
	v_add_f64 v[16:17], v[16:17], v[32:33]
	v_add_f64 v[81:82], v[8:9], -v[4:5]
	v_fma_f64 v[83:84], v[26:27], s[16:17], v[30:31]
	v_add_f64 v[85:86], v[32:33], -v[24:25]
	v_add_f64 v[87:88], v[4:5], -v[8:9]
	v_fma_f64 v[89:90], v[34:35], s[6:7], v[77:78]
	v_fma_f64 v[30:31], v[26:27], s[6:7], v[30:31]
	;; [unrolled: 1-line block ×3, first 2 shown]
	v_add_f64 v[16:17], v[16:17], v[4:5]
	v_add_f64 v[20:21], v[20:21], v[0:1]
	v_fma_f64 v[48:49], v[52:53], s[20:21], -v[48:49]
	v_fma_f64 v[65:66], v[67:68], s[16:17], -v[65:66]
	v_add_f64 v[79:80], v[79:80], v[81:82]
	v_mul_f64 v[24:25], v[52:53], s[18:19]
	v_add_f64 v[28:29], v[85:86], v[87:88]
	v_fma_f64 v[52:53], v[26:27], s[20:21], v[89:90]
	v_mul_f64 v[67:68], v[67:68], s[8:9]
	v_fma_f64 v[30:31], v[34:35], s[14:15], v[30:31]
	v_mul_f64 v[32:33], v[42:43], s[14:15]
	v_fma_f64 v[26:27], v[26:27], s[14:15], v[77:78]
	v_mul_f64 v[22:23], v[22:23], s[6:7]
	v_fma_f64 v[81:82], v[34:35], s[20:21], v[83:84]
	v_add_f64 v[8:9], v[16:17], v[8:9]
	v_add_f64 v[12:13], v[20:21], v[12:13]
	v_fma_f64 v[54:55], v[54:55], s[14:15], -v[24:25]
	v_fma_f64 v[24:25], v[28:29], s[8:9], v[52:53]
	v_fma_f64 v[52:53], v[56:57], s[6:7], -v[67:68]
	v_fma_f64 v[56:57], v[79:80], s[8:9], v[30:31]
	v_fma_f64 v[46:47], v[46:47], s[18:19], v[32:33]
	;; [unrolled: 1-line block ×6, first 2 shown]
	v_add_f64 v[14:15], v[38:39], -v[50:51]
	v_add_f64 v[34:35], v[38:39], v[50:51]
	v_add_f64 v[38:39], v[73:74], v[75:76]
	v_add_f64 v[36:37], v[8:9], v[12:13]
	v_add_f64 v[32:33], v[56:57], v[46:47]
	v_add_f64 v[30:31], v[58:59], v[40:41]
	v_add_f64 v[28:29], v[42:43], v[44:45]
	v_add_f64 v[4:5], v[24:25], -v[52:53]
	v_add_f64 v[26:27], v[71:72], v[65:66]
	v_add_f64 v[24:25], v[24:25], v[52:53]
	;; [unrolled: 1-line block ×4, first 2 shown]
	v_add_f64 v[18:19], v[73:74], -v[75:76]
	v_add_f64 v[16:17], v[8:9], -v[12:13]
	;; [unrolled: 1-line block ×8, first 2 shown]
	ds_write_b128 v185, v[36:39]
	ds_write_b128 v185, v[32:35] offset:1056
	ds_write_b128 v185, v[28:31] offset:2112
	;; [unrolled: 1-line block ×9, first 2 shown]
.LBB0_19:
	s_or_b64 exec, exec, s[4:5]
	s_waitcnt lgkmcnt(0)
	s_barrier
	ds_read_b128 v[4:7], v185
	s_add_u32 s6, s12, 0x2890
	v_lshlrev_b32_e32 v0, 4, v64
	s_addc_u32 s7, s13, 0
	v_sub_u32_e32 v14, 0, v0
	v_cmp_ne_u32_e32 vcc, 0, v64
                                        ; implicit-def: $vgpr0_vgpr1
                                        ; implicit-def: $vgpr8_vgpr9
                                        ; implicit-def: $vgpr10_vgpr11
                                        ; implicit-def: $vgpr12_vgpr13
	s_and_saveexec_b64 s[4:5], vcc
	s_xor_b64 s[4:5], exec, s[4:5]
	s_cbranch_execz .LBB0_21
; %bb.20:
	v_mov_b32_e32 v65, 0
	v_lshlrev_b64 v[0:1], 4, v[64:65]
	v_mov_b32_e32 v2, s7
	v_add_co_u32_e32 v0, vcc, s6, v0
	v_addc_co_u32_e32 v1, vcc, v2, v1, vcc
	global_load_dwordx4 v[15:18], v[0:1], off
	ds_read_b128 v[0:3], v14 offset:10560
	s_waitcnt lgkmcnt(0)
	v_add_f64 v[8:9], v[4:5], -v[0:1]
	v_add_f64 v[10:11], v[6:7], v[2:3]
	v_add_f64 v[2:3], v[6:7], -v[2:3]
	v_add_f64 v[0:1], v[4:5], v[0:1]
	v_mul_f64 v[6:7], v[8:9], 0.5
	v_mul_f64 v[4:5], v[10:11], 0.5
	v_mul_f64 v[2:3], v[2:3], 0.5
	s_waitcnt vmcnt(0)
	v_mul_f64 v[8:9], v[6:7], v[17:18]
	v_fma_f64 v[10:11], v[4:5], v[17:18], v[2:3]
	v_fma_f64 v[2:3], v[4:5], v[17:18], -v[2:3]
	v_fma_f64 v[12:13], v[0:1], 0.5, v[8:9]
	v_fma_f64 v[0:1], v[0:1], 0.5, -v[8:9]
	v_fma_f64 v[10:11], -v[15:16], v[6:7], v[10:11]
	v_fma_f64 v[2:3], -v[15:16], v[6:7], v[2:3]
	v_fma_f64 v[8:9], v[4:5], v[15:16], v[12:13]
	v_mov_b32_e32 v12, v64
	v_fma_f64 v[0:1], -v[4:5], v[15:16], v[0:1]
	v_mov_b32_e32 v13, v65
                                        ; implicit-def: $vgpr4_vgpr5
.LBB0_21:
	s_andn2_saveexec_b64 s[4:5], s[4:5]
	s_cbranch_execz .LBB0_23
; %bb.22:
	s_waitcnt lgkmcnt(0)
	v_add_f64 v[8:9], v[4:5], v[6:7]
	v_add_f64 v[0:1], v[4:5], -v[6:7]
	v_mov_b32_e32 v4, 0
	ds_read_b64 v[2:3], v4 offset:5288
	v_mov_b32_e32 v10, 0
	v_mov_b32_e32 v12, 0
	;; [unrolled: 1-line block ×4, first 2 shown]
	s_waitcnt lgkmcnt(0)
	v_xor_b32_e32 v3, 0x80000000, v3
	ds_write_b64 v4, v[2:3] offset:5288
	v_mov_b32_e32 v2, v10
	v_mov_b32_e32 v3, v11
.LBB0_23:
	s_or_b64 exec, exec, s[4:5]
	s_waitcnt lgkmcnt(0)
	v_lshlrev_b64 v[4:5], 4, v[12:13]
	v_mov_b32_e32 v6, s7
	v_add_co_u32_e32 v12, vcc, s6, v4
	v_addc_co_u32_e32 v13, vcc, v6, v5, vcc
	global_load_dwordx4 v[4:7], v[12:13], off offset:1760
	global_load_dwordx4 v[15:18], v[12:13], off offset:3520
	ds_write2_b64 v185, v[8:9], v[10:11] offset1:1
	ds_write_b128 v14, v[0:3] offset:10560
	ds_read_b128 v[0:3], v185 offset:1760
	ds_read_b128 v[8:11], v14 offset:8800
	s_waitcnt lgkmcnt(0)
	v_add_f64 v[12:13], v[0:1], -v[8:9]
	v_add_f64 v[19:20], v[2:3], v[10:11]
	v_add_f64 v[2:3], v[2:3], -v[10:11]
	v_add_f64 v[0:1], v[0:1], v[8:9]
	v_mul_f64 v[10:11], v[12:13], 0.5
	v_mul_f64 v[12:13], v[19:20], 0.5
	v_mul_f64 v[2:3], v[2:3], 0.5
	s_waitcnt vmcnt(1)
	v_mul_f64 v[8:9], v[10:11], v[6:7]
	v_fma_f64 v[19:20], v[12:13], v[6:7], v[2:3]
	v_fma_f64 v[2:3], v[12:13], v[6:7], -v[2:3]
	v_fma_f64 v[6:7], v[0:1], 0.5, v[8:9]
	v_fma_f64 v[0:1], v[0:1], 0.5, -v[8:9]
	v_fma_f64 v[8:9], -v[4:5], v[10:11], v[19:20]
	v_fma_f64 v[2:3], -v[4:5], v[10:11], v[2:3]
	v_fma_f64 v[6:7], v[12:13], v[4:5], v[6:7]
	v_fma_f64 v[0:1], -v[12:13], v[4:5], v[0:1]
	ds_write2_b64 v185, v[6:7], v[8:9] offset0:220 offset1:221
	ds_write_b128 v14, v[0:3] offset:8800
	ds_read_b128 v[0:3], v185 offset:3520
	ds_read_b128 v[4:7], v14 offset:7040
	s_waitcnt lgkmcnt(0)
	v_add_f64 v[8:9], v[0:1], -v[4:5]
	v_add_f64 v[10:11], v[2:3], v[6:7]
	v_add_f64 v[2:3], v[2:3], -v[6:7]
	v_add_f64 v[0:1], v[0:1], v[4:5]
	v_mul_f64 v[6:7], v[8:9], 0.5
	v_mul_f64 v[8:9], v[10:11], 0.5
	;; [unrolled: 1-line block ×3, first 2 shown]
	s_waitcnt vmcnt(0)
	v_mul_f64 v[4:5], v[6:7], v[17:18]
	v_fma_f64 v[10:11], v[8:9], v[17:18], v[2:3]
	v_fma_f64 v[2:3], v[8:9], v[17:18], -v[2:3]
	v_fma_f64 v[12:13], v[0:1], 0.5, v[4:5]
	v_fma_f64 v[0:1], v[0:1], 0.5, -v[4:5]
	v_fma_f64 v[4:5], -v[15:16], v[6:7], v[10:11]
	v_fma_f64 v[2:3], -v[15:16], v[6:7], v[2:3]
	v_fma_f64 v[6:7], v[8:9], v[15:16], v[12:13]
	v_fma_f64 v[0:1], -v[8:9], v[15:16], v[0:1]
	v_add_u32_e32 v8, 0x800, v185
	ds_write2_b64 v8, v[6:7], v[4:5] offset0:184 offset1:185
	ds_write_b128 v14, v[0:3] offset:7040
	s_waitcnt lgkmcnt(0)
	s_barrier
	s_and_saveexec_b64 s[4:5], s[0:1]
	s_cbranch_execz .LBB0_26
; %bb.24:
	v_mul_lo_u32 v2, s3, v62
	v_mul_lo_u32 v3, s2, v63
	v_mad_u64_u32 v[0:1], s[0:1], s2, v62, 0
	v_mov_b32_e32 v6, s11
	v_lshl_add_u32 v12, v64, 4, 0
	v_add3_u32 v1, v1, v3, v2
	v_lshlrev_b64 v[0:1], 4, v[0:1]
	v_mov_b32_e32 v65, 0
	v_add_co_u32_e32 v0, vcc, s10, v0
	v_addc_co_u32_e32 v8, vcc, v6, v1, vcc
	v_lshlrev_b64 v[6:7], 4, v[60:61]
	ds_read_b128 v[2:5], v12
	v_add_co_u32_e32 v1, vcc, v0, v6
	v_addc_co_u32_e32 v0, vcc, v8, v7, vcc
	v_lshlrev_b64 v[6:7], 4, v[64:65]
	s_movk_i32 s0, 0x6d
	v_add_co_u32_e32 v10, vcc, v1, v6
	v_addc_co_u32_e32 v11, vcc, v0, v7, vcc
	ds_read_b128 v[6:9], v12 offset:1760
	s_waitcnt lgkmcnt(1)
	global_store_dwordx4 v[10:11], v[2:5], off
	s_nop 0
	v_add_u32_e32 v2, 0x6e, v64
	v_mov_b32_e32 v3, v65
	v_lshlrev_b64 v[2:3], 4, v[2:3]
	v_add_co_u32_e32 v2, vcc, v1, v2
	v_addc_co_u32_e32 v3, vcc, v0, v3, vcc
	s_waitcnt lgkmcnt(0)
	global_store_dwordx4 v[2:3], v[6:9], off
	ds_read_b128 v[2:5], v12 offset:3520
	v_add_u32_e32 v6, 0xdc, v64
	v_mov_b32_e32 v7, v65
	v_lshlrev_b64 v[6:7], 4, v[6:7]
	v_add_co_u32_e32 v10, vcc, v1, v6
	v_addc_co_u32_e32 v11, vcc, v0, v7, vcc
	ds_read_b128 v[6:9], v12 offset:5280
	s_waitcnt lgkmcnt(1)
	global_store_dwordx4 v[10:11], v[2:5], off
	s_nop 0
	v_add_u32_e32 v2, 0x14a, v64
	v_mov_b32_e32 v3, v65
	v_lshlrev_b64 v[2:3], 4, v[2:3]
	v_add_co_u32_e32 v2, vcc, v1, v2
	v_addc_co_u32_e32 v3, vcc, v0, v3, vcc
	s_waitcnt lgkmcnt(0)
	global_store_dwordx4 v[2:3], v[6:9], off
	ds_read_b128 v[2:5], v12 offset:7040
	v_add_u32_e32 v6, 0x1b8, v64
	v_mov_b32_e32 v7, v65
	v_lshlrev_b64 v[6:7], 4, v[6:7]
	v_add_co_u32_e32 v10, vcc, v1, v6
	v_addc_co_u32_e32 v11, vcc, v0, v7, vcc
	ds_read_b128 v[6:9], v12 offset:8800
	s_waitcnt lgkmcnt(1)
	global_store_dwordx4 v[10:11], v[2:5], off
	s_nop 0
	v_add_u32_e32 v2, 0x226, v64
	v_mov_b32_e32 v3, v65
	v_lshlrev_b64 v[2:3], 4, v[2:3]
	v_add_co_u32_e32 v2, vcc, v1, v2
	v_addc_co_u32_e32 v3, vcc, v0, v3, vcc
	v_cmp_eq_u32_e32 vcc, s0, v64
	s_waitcnt lgkmcnt(0)
	global_store_dwordx4 v[2:3], v[6:9], off
	s_and_b64 exec, exec, vcc
	s_cbranch_execz .LBB0_26
; %bb.25:
	ds_read_b128 v[2:5], v65 offset:10560
	v_add_co_u32_e32 v6, vcc, 0x2000, v1
	v_addc_co_u32_e32 v7, vcc, 0, v0, vcc
	s_waitcnt lgkmcnt(0)
	global_store_dwordx4 v[6:7], v[2:5], off offset:2368
.LBB0_26:
	s_endpgm
	.section	.rodata,"a",@progbits
	.p2align	6, 0x0
	.amdhsa_kernel fft_rtc_fwd_len660_factors_11_6_10_wgs_110_tpt_110_halfLds_dp_op_CI_CI_unitstride_sbrr_R2C_dirReg
		.amdhsa_group_segment_fixed_size 0
		.amdhsa_private_segment_fixed_size 0
		.amdhsa_kernarg_size 104
		.amdhsa_user_sgpr_count 6
		.amdhsa_user_sgpr_private_segment_buffer 1
		.amdhsa_user_sgpr_dispatch_ptr 0
		.amdhsa_user_sgpr_queue_ptr 0
		.amdhsa_user_sgpr_kernarg_segment_ptr 1
		.amdhsa_user_sgpr_dispatch_id 0
		.amdhsa_user_sgpr_flat_scratch_init 0
		.amdhsa_user_sgpr_private_segment_size 0
		.amdhsa_uses_dynamic_stack 0
		.amdhsa_system_sgpr_private_segment_wavefront_offset 0
		.amdhsa_system_sgpr_workgroup_id_x 1
		.amdhsa_system_sgpr_workgroup_id_y 0
		.amdhsa_system_sgpr_workgroup_id_z 0
		.amdhsa_system_sgpr_workgroup_info 0
		.amdhsa_system_vgpr_workitem_id 0
		.amdhsa_next_free_vgpr 248
		.amdhsa_next_free_sgpr 40
		.amdhsa_reserve_vcc 1
		.amdhsa_reserve_flat_scratch 0
		.amdhsa_float_round_mode_32 0
		.amdhsa_float_round_mode_16_64 0
		.amdhsa_float_denorm_mode_32 3
		.amdhsa_float_denorm_mode_16_64 3
		.amdhsa_dx10_clamp 1
		.amdhsa_ieee_mode 1
		.amdhsa_fp16_overflow 0
		.amdhsa_exception_fp_ieee_invalid_op 0
		.amdhsa_exception_fp_denorm_src 0
		.amdhsa_exception_fp_ieee_div_zero 0
		.amdhsa_exception_fp_ieee_overflow 0
		.amdhsa_exception_fp_ieee_underflow 0
		.amdhsa_exception_fp_ieee_inexact 0
		.amdhsa_exception_int_div_zero 0
	.end_amdhsa_kernel
	.text
.Lfunc_end0:
	.size	fft_rtc_fwd_len660_factors_11_6_10_wgs_110_tpt_110_halfLds_dp_op_CI_CI_unitstride_sbrr_R2C_dirReg, .Lfunc_end0-fft_rtc_fwd_len660_factors_11_6_10_wgs_110_tpt_110_halfLds_dp_op_CI_CI_unitstride_sbrr_R2C_dirReg
                                        ; -- End function
	.section	.AMDGPU.csdata,"",@progbits
; Kernel info:
; codeLenInByte = 8452
; NumSgprs: 44
; NumVgprs: 248
; ScratchSize: 0
; MemoryBound: 0
; FloatMode: 240
; IeeeMode: 1
; LDSByteSize: 0 bytes/workgroup (compile time only)
; SGPRBlocks: 5
; VGPRBlocks: 61
; NumSGPRsForWavesPerEU: 44
; NumVGPRsForWavesPerEU: 248
; Occupancy: 1
; WaveLimiterHint : 1
; COMPUTE_PGM_RSRC2:SCRATCH_EN: 0
; COMPUTE_PGM_RSRC2:USER_SGPR: 6
; COMPUTE_PGM_RSRC2:TRAP_HANDLER: 0
; COMPUTE_PGM_RSRC2:TGID_X_EN: 1
; COMPUTE_PGM_RSRC2:TGID_Y_EN: 0
; COMPUTE_PGM_RSRC2:TGID_Z_EN: 0
; COMPUTE_PGM_RSRC2:TIDIG_COMP_CNT: 0
	.type	__hip_cuid_23db0f4357943eed,@object ; @__hip_cuid_23db0f4357943eed
	.section	.bss,"aw",@nobits
	.globl	__hip_cuid_23db0f4357943eed
__hip_cuid_23db0f4357943eed:
	.byte	0                               ; 0x0
	.size	__hip_cuid_23db0f4357943eed, 1

	.ident	"AMD clang version 19.0.0git (https://github.com/RadeonOpenCompute/llvm-project roc-6.4.0 25133 c7fe45cf4b819c5991fe208aaa96edf142730f1d)"
	.section	".note.GNU-stack","",@progbits
	.addrsig
	.addrsig_sym __hip_cuid_23db0f4357943eed
	.amdgpu_metadata
---
amdhsa.kernels:
  - .args:
      - .actual_access:  read_only
        .address_space:  global
        .offset:         0
        .size:           8
        .value_kind:     global_buffer
      - .offset:         8
        .size:           8
        .value_kind:     by_value
      - .actual_access:  read_only
        .address_space:  global
        .offset:         16
        .size:           8
        .value_kind:     global_buffer
      - .actual_access:  read_only
        .address_space:  global
        .offset:         24
        .size:           8
        .value_kind:     global_buffer
      - .actual_access:  read_only
        .address_space:  global
        .offset:         32
        .size:           8
        .value_kind:     global_buffer
      - .offset:         40
        .size:           8
        .value_kind:     by_value
      - .actual_access:  read_only
        .address_space:  global
        .offset:         48
        .size:           8
        .value_kind:     global_buffer
      - .actual_access:  read_only
        .address_space:  global
        .offset:         56
        .size:           8
        .value_kind:     global_buffer
      - .offset:         64
        .size:           4
        .value_kind:     by_value
      - .actual_access:  read_only
        .address_space:  global
        .offset:         72
        .size:           8
        .value_kind:     global_buffer
      - .actual_access:  read_only
        .address_space:  global
        .offset:         80
        .size:           8
        .value_kind:     global_buffer
      - .actual_access:  read_only
        .address_space:  global
        .offset:         88
        .size:           8
        .value_kind:     global_buffer
      - .actual_access:  write_only
        .address_space:  global
        .offset:         96
        .size:           8
        .value_kind:     global_buffer
    .group_segment_fixed_size: 0
    .kernarg_segment_align: 8
    .kernarg_segment_size: 104
    .language:       OpenCL C
    .language_version:
      - 2
      - 0
    .max_flat_workgroup_size: 110
    .name:           fft_rtc_fwd_len660_factors_11_6_10_wgs_110_tpt_110_halfLds_dp_op_CI_CI_unitstride_sbrr_R2C_dirReg
    .private_segment_fixed_size: 0
    .sgpr_count:     44
    .sgpr_spill_count: 0
    .symbol:         fft_rtc_fwd_len660_factors_11_6_10_wgs_110_tpt_110_halfLds_dp_op_CI_CI_unitstride_sbrr_R2C_dirReg.kd
    .uniform_work_group_size: 1
    .uses_dynamic_stack: false
    .vgpr_count:     248
    .vgpr_spill_count: 0
    .wavefront_size: 64
amdhsa.target:   amdgcn-amd-amdhsa--gfx906
amdhsa.version:
  - 1
  - 2
...

	.end_amdgpu_metadata
